;; amdgpu-corpus repo=ROCm/rocFFT kind=compiled arch=gfx906 opt=O3
	.text
	.amdgcn_target "amdgcn-amd-amdhsa--gfx906"
	.amdhsa_code_object_version 6
	.protected	fft_rtc_fwd_len630_factors_3_3_5_7_2_wgs_63_tpt_63_halfLds_sp_ip_CI_unitstride_sbrr_C2R_dirReg ; -- Begin function fft_rtc_fwd_len630_factors_3_3_5_7_2_wgs_63_tpt_63_halfLds_sp_ip_CI_unitstride_sbrr_C2R_dirReg
	.globl	fft_rtc_fwd_len630_factors_3_3_5_7_2_wgs_63_tpt_63_halfLds_sp_ip_CI_unitstride_sbrr_C2R_dirReg
	.p2align	8
	.type	fft_rtc_fwd_len630_factors_3_3_5_7_2_wgs_63_tpt_63_halfLds_sp_ip_CI_unitstride_sbrr_C2R_dirReg,@function
fft_rtc_fwd_len630_factors_3_3_5_7_2_wgs_63_tpt_63_halfLds_sp_ip_CI_unitstride_sbrr_C2R_dirReg: ; @fft_rtc_fwd_len630_factors_3_3_5_7_2_wgs_63_tpt_63_halfLds_sp_ip_CI_unitstride_sbrr_C2R_dirReg
; %bb.0:
	s_load_dwordx2 s[12:13], s[4:5], 0x50
	s_load_dwordx4 s[8:11], s[4:5], 0x0
	s_load_dwordx2 s[2:3], s[4:5], 0x18
	v_mul_u32_u24_e32 v1, 0x411, v0
	v_add_u32_sdwa v5, s6, v1 dst_sel:DWORD dst_unused:UNUSED_PAD src0_sel:DWORD src1_sel:WORD_1
	v_mov_b32_e32 v3, 0
	s_waitcnt lgkmcnt(0)
	v_cmp_lt_u64_e64 s[0:1], s[10:11], 2
	v_mov_b32_e32 v1, 0
	v_mov_b32_e32 v6, v3
	s_and_b64 vcc, exec, s[0:1]
	v_mov_b32_e32 v2, 0
	s_cbranch_vccnz .LBB0_8
; %bb.1:
	s_load_dwordx2 s[0:1], s[4:5], 0x10
	s_add_u32 s6, s2, 8
	s_addc_u32 s7, s3, 0
	v_mov_b32_e32 v1, 0
	v_mov_b32_e32 v2, 0
	s_waitcnt lgkmcnt(0)
	s_add_u32 s14, s0, 8
	s_addc_u32 s15, s1, 0
	s_mov_b64 s[16:17], 1
.LBB0_2:                                ; =>This Inner Loop Header: Depth=1
	s_load_dwordx2 s[18:19], s[14:15], 0x0
                                        ; implicit-def: $vgpr7_vgpr8
	s_waitcnt lgkmcnt(0)
	v_or_b32_e32 v4, s19, v6
	v_cmp_ne_u64_e32 vcc, 0, v[3:4]
	s_and_saveexec_b64 s[0:1], vcc
	s_xor_b64 s[20:21], exec, s[0:1]
	s_cbranch_execz .LBB0_4
; %bb.3:                                ;   in Loop: Header=BB0_2 Depth=1
	v_cvt_f32_u32_e32 v4, s18
	v_cvt_f32_u32_e32 v7, s19
	s_sub_u32 s0, 0, s18
	s_subb_u32 s1, 0, s19
	v_mac_f32_e32 v4, 0x4f800000, v7
	v_rcp_f32_e32 v4, v4
	v_mul_f32_e32 v4, 0x5f7ffffc, v4
	v_mul_f32_e32 v7, 0x2f800000, v4
	v_trunc_f32_e32 v7, v7
	v_mac_f32_e32 v4, 0xcf800000, v7
	v_cvt_u32_f32_e32 v7, v7
	v_cvt_u32_f32_e32 v4, v4
	v_mul_lo_u32 v8, s0, v7
	v_mul_hi_u32 v9, s0, v4
	v_mul_lo_u32 v11, s1, v4
	v_mul_lo_u32 v10, s0, v4
	v_add_u32_e32 v8, v9, v8
	v_add_u32_e32 v8, v8, v11
	v_mul_hi_u32 v9, v4, v10
	v_mul_lo_u32 v11, v4, v8
	v_mul_hi_u32 v13, v4, v8
	v_mul_hi_u32 v12, v7, v10
	v_mul_lo_u32 v10, v7, v10
	v_mul_hi_u32 v14, v7, v8
	v_add_co_u32_e32 v9, vcc, v9, v11
	v_addc_co_u32_e32 v11, vcc, 0, v13, vcc
	v_mul_lo_u32 v8, v7, v8
	v_add_co_u32_e32 v9, vcc, v9, v10
	v_addc_co_u32_e32 v9, vcc, v11, v12, vcc
	v_addc_co_u32_e32 v10, vcc, 0, v14, vcc
	v_add_co_u32_e32 v8, vcc, v9, v8
	v_addc_co_u32_e32 v9, vcc, 0, v10, vcc
	v_add_co_u32_e32 v4, vcc, v4, v8
	v_addc_co_u32_e32 v7, vcc, v7, v9, vcc
	v_mul_lo_u32 v8, s0, v7
	v_mul_hi_u32 v9, s0, v4
	v_mul_lo_u32 v10, s1, v4
	v_mul_lo_u32 v11, s0, v4
	v_add_u32_e32 v8, v9, v8
	v_add_u32_e32 v8, v8, v10
	v_mul_lo_u32 v12, v4, v8
	v_mul_hi_u32 v13, v4, v11
	v_mul_hi_u32 v14, v4, v8
	;; [unrolled: 1-line block ×3, first 2 shown]
	v_mul_lo_u32 v11, v7, v11
	v_mul_hi_u32 v9, v7, v8
	v_add_co_u32_e32 v12, vcc, v13, v12
	v_addc_co_u32_e32 v13, vcc, 0, v14, vcc
	v_mul_lo_u32 v8, v7, v8
	v_add_co_u32_e32 v11, vcc, v12, v11
	v_addc_co_u32_e32 v10, vcc, v13, v10, vcc
	v_addc_co_u32_e32 v9, vcc, 0, v9, vcc
	v_add_co_u32_e32 v8, vcc, v10, v8
	v_addc_co_u32_e32 v9, vcc, 0, v9, vcc
	v_add_co_u32_e32 v4, vcc, v4, v8
	v_addc_co_u32_e32 v9, vcc, v7, v9, vcc
	v_mad_u64_u32 v[7:8], s[0:1], v5, v9, 0
	v_mul_hi_u32 v10, v5, v4
	v_add_co_u32_e32 v11, vcc, v10, v7
	v_addc_co_u32_e32 v12, vcc, 0, v8, vcc
	v_mad_u64_u32 v[7:8], s[0:1], v6, v4, 0
	v_mad_u64_u32 v[9:10], s[0:1], v6, v9, 0
	v_add_co_u32_e32 v4, vcc, v11, v7
	v_addc_co_u32_e32 v4, vcc, v12, v8, vcc
	v_addc_co_u32_e32 v7, vcc, 0, v10, vcc
	v_add_co_u32_e32 v4, vcc, v4, v9
	v_addc_co_u32_e32 v9, vcc, 0, v7, vcc
	v_mul_lo_u32 v10, s19, v4
	v_mul_lo_u32 v11, s18, v9
	v_mad_u64_u32 v[7:8], s[0:1], s18, v4, 0
	v_add3_u32 v8, v8, v11, v10
	v_sub_u32_e32 v10, v6, v8
	v_mov_b32_e32 v11, s19
	v_sub_co_u32_e32 v7, vcc, v5, v7
	v_subb_co_u32_e64 v10, s[0:1], v10, v11, vcc
	v_subrev_co_u32_e64 v11, s[0:1], s18, v7
	v_subbrev_co_u32_e64 v10, s[0:1], 0, v10, s[0:1]
	v_cmp_le_u32_e64 s[0:1], s19, v10
	v_cndmask_b32_e64 v12, 0, -1, s[0:1]
	v_cmp_le_u32_e64 s[0:1], s18, v11
	v_cndmask_b32_e64 v11, 0, -1, s[0:1]
	v_cmp_eq_u32_e64 s[0:1], s19, v10
	v_cndmask_b32_e64 v10, v12, v11, s[0:1]
	v_add_co_u32_e64 v11, s[0:1], 2, v4
	v_addc_co_u32_e64 v12, s[0:1], 0, v9, s[0:1]
	v_add_co_u32_e64 v13, s[0:1], 1, v4
	v_addc_co_u32_e64 v14, s[0:1], 0, v9, s[0:1]
	v_subb_co_u32_e32 v8, vcc, v6, v8, vcc
	v_cmp_ne_u32_e64 s[0:1], 0, v10
	v_cmp_le_u32_e32 vcc, s19, v8
	v_cndmask_b32_e64 v10, v14, v12, s[0:1]
	v_cndmask_b32_e64 v12, 0, -1, vcc
	v_cmp_le_u32_e32 vcc, s18, v7
	v_cndmask_b32_e64 v7, 0, -1, vcc
	v_cmp_eq_u32_e32 vcc, s19, v8
	v_cndmask_b32_e32 v7, v12, v7, vcc
	v_cmp_ne_u32_e32 vcc, 0, v7
	v_cndmask_b32_e64 v7, v13, v11, s[0:1]
	v_cndmask_b32_e32 v8, v9, v10, vcc
	v_cndmask_b32_e32 v7, v4, v7, vcc
.LBB0_4:                                ;   in Loop: Header=BB0_2 Depth=1
	s_andn2_saveexec_b64 s[0:1], s[20:21]
	s_cbranch_execz .LBB0_6
; %bb.5:                                ;   in Loop: Header=BB0_2 Depth=1
	v_cvt_f32_u32_e32 v4, s18
	s_sub_i32 s20, 0, s18
	v_rcp_iflag_f32_e32 v4, v4
	v_mul_f32_e32 v4, 0x4f7ffffe, v4
	v_cvt_u32_f32_e32 v4, v4
	v_mul_lo_u32 v7, s20, v4
	v_mul_hi_u32 v7, v4, v7
	v_add_u32_e32 v4, v4, v7
	v_mul_hi_u32 v4, v5, v4
	v_mul_lo_u32 v7, v4, s18
	v_add_u32_e32 v8, 1, v4
	v_sub_u32_e32 v7, v5, v7
	v_subrev_u32_e32 v9, s18, v7
	v_cmp_le_u32_e32 vcc, s18, v7
	v_cndmask_b32_e32 v7, v7, v9, vcc
	v_cndmask_b32_e32 v4, v4, v8, vcc
	v_add_u32_e32 v8, 1, v4
	v_cmp_le_u32_e32 vcc, s18, v7
	v_cndmask_b32_e32 v7, v4, v8, vcc
	v_mov_b32_e32 v8, v3
.LBB0_6:                                ;   in Loop: Header=BB0_2 Depth=1
	s_or_b64 exec, exec, s[0:1]
	v_mul_lo_u32 v4, v8, s18
	v_mul_lo_u32 v11, v7, s19
	v_mad_u64_u32 v[9:10], s[0:1], v7, s18, 0
	s_load_dwordx2 s[0:1], s[6:7], 0x0
	s_add_u32 s16, s16, 1
	v_add3_u32 v4, v10, v11, v4
	v_sub_co_u32_e32 v5, vcc, v5, v9
	v_subb_co_u32_e32 v4, vcc, v6, v4, vcc
	s_waitcnt lgkmcnt(0)
	v_mul_lo_u32 v4, s0, v4
	v_mul_lo_u32 v6, s1, v5
	v_mad_u64_u32 v[1:2], s[0:1], s0, v5, v[1:2]
	s_addc_u32 s17, s17, 0
	s_add_u32 s6, s6, 8
	v_add3_u32 v2, v6, v2, v4
	v_mov_b32_e32 v4, s10
	v_mov_b32_e32 v5, s11
	s_addc_u32 s7, s7, 0
	v_cmp_ge_u64_e32 vcc, s[16:17], v[4:5]
	s_add_u32 s14, s14, 8
	s_addc_u32 s15, s15, 0
	s_cbranch_vccnz .LBB0_9
; %bb.7:                                ;   in Loop: Header=BB0_2 Depth=1
	v_mov_b32_e32 v5, v7
	v_mov_b32_e32 v6, v8
	s_branch .LBB0_2
.LBB0_8:
	v_mov_b32_e32 v8, v6
	v_mov_b32_e32 v7, v5
.LBB0_9:
	s_lshl_b64 s[0:1], s[10:11], 3
	s_add_u32 s0, s2, s0
	s_addc_u32 s1, s3, s1
	s_load_dwordx2 s[2:3], s[0:1], 0x0
	s_load_dwordx2 s[6:7], s[4:5], 0x20
	s_waitcnt lgkmcnt(0)
	v_mad_u64_u32 v[3:4], s[0:1], s2, v7, v[1:2]
	s_mov_b32 s0, 0x4104105
	v_mul_lo_u32 v5, s2, v8
	v_mul_lo_u32 v6, s3, v7
	v_mul_hi_u32 v1, v0, s0
	v_cmp_gt_u64_e64 s[0:1], s[6:7], v[7:8]
	v_mov_b32_e32 v2, 0
	v_add3_u32 v4, v6, v4, v5
	v_mul_u32_u24_e32 v1, 63, v1
	v_sub_u32_e32 v1, v0, v1
	v_lshlrev_b64 v[26:27], 3, v[3:4]
	v_mov_b32_e32 v24, v1
	s_and_saveexec_b64 s[2:3], s[0:1]
	s_cbranch_execz .LBB0_13
; %bb.10:
	v_mov_b32_e32 v0, s13
	v_add_co_u32_e32 v4, vcc, s12, v26
	v_lshlrev_b64 v[5:6], 3, v[1:2]
	v_addc_co_u32_e32 v0, vcc, v0, v27, vcc
	v_add_co_u32_e32 v5, vcc, v4, v5
	v_addc_co_u32_e32 v6, vcc, v0, v6, vcc
	v_add_co_u32_e32 v23, vcc, 0x1000, v5
	global_load_dwordx2 v[7:8], v[5:6], off offset:2016
	global_load_dwordx2 v[9:10], v[5:6], off offset:2520
	global_load_dwordx2 v[11:12], v[5:6], off offset:3024
	global_load_dwordx2 v[13:14], v[5:6], off offset:3528
	global_load_dwordx2 v[15:16], v[5:6], off
	global_load_dwordx2 v[17:18], v[5:6], off offset:504
	global_load_dwordx2 v[19:20], v[5:6], off offset:1008
	;; [unrolled: 1-line block ×3, first 2 shown]
	v_addc_co_u32_e32 v24, vcc, 0, v6, vcc
	global_load_dwordx2 v[28:29], v[5:6], off offset:4032
	global_load_dwordx2 v[30:31], v[23:24], off offset:440
	v_lshl_add_u32 v3, v1, 3, 0
	v_add_u32_e32 v5, 0x400, v3
	v_add_u32_e32 v6, 0x800, v3
	;; [unrolled: 1-line block ×3, first 2 shown]
	v_cmp_eq_u32_e32 vcc, 62, v1
	s_waitcnt vmcnt(8)
	ds_write2_b64 v5, v[7:8], v[9:10] offset0:124 offset1:187
	s_waitcnt vmcnt(4)
	ds_write2_b64 v3, v[15:16], v[17:18] offset1:63
	s_waitcnt vmcnt(2)
	ds_write2_b64 v3, v[19:20], v[21:22] offset0:126 offset1:189
	ds_write2_b64 v6, v[11:12], v[13:14] offset0:122 offset1:185
	s_waitcnt vmcnt(0)
	ds_write2_b64 v23, v[28:29], v[30:31] offset0:120 offset1:183
	v_mov_b32_e32 v3, v2
	v_mov_b32_e32 v2, v1
	s_and_saveexec_b64 s[4:5], vcc
	s_cbranch_execz .LBB0_12
; %bb.11:
	v_add_co_u32_e32 v1, vcc, 0x1000, v4
	v_addc_co_u32_e32 v2, vcc, 0, v0, vcc
	global_load_dwordx2 v[0:1], v[1:2], off offset:944
	v_mov_b32_e32 v4, 0
	v_mov_b32_e32 v2, 62
	;; [unrolled: 1-line block ×3, first 2 shown]
	s_waitcnt vmcnt(0)
	ds_write_b64 v4, v[0:1] offset:5040
	v_mov_b32_e32 v1, 62
.LBB0_12:
	s_or_b64 exec, exec, s[4:5]
	v_mov_b32_e32 v24, v1
	v_mov_b32_e32 v1, v2
	;; [unrolled: 1-line block ×3, first 2 shown]
.LBB0_13:
	s_or_b64 exec, exec, s[2:3]
	v_lshlrev_b32_e32 v0, 3, v24
	v_add_u32_e32 v36, 0, v0
	s_waitcnt lgkmcnt(0)
	; wave barrier
	s_waitcnt lgkmcnt(0)
	v_sub_u32_e32 v3, 0, v0
	ds_read_b32 v4, v36
	ds_read_b32 v5, v3 offset:5040
	s_add_u32 s4, s8, 0x1398
	v_lshlrev_b64 v[28:29], 3, v[1:2]
	s_addc_u32 s5, s9, 0
	v_cmp_ne_u32_e32 vcc, 0, v24
	s_waitcnt lgkmcnt(0)
	v_add_f32_e32 v0, v5, v4
	v_sub_f32_e32 v1, v4, v5
	s_and_saveexec_b64 s[2:3], vcc
	s_xor_b64 s[2:3], exec, s[2:3]
	s_cbranch_execz .LBB0_15
; %bb.14:
	v_mov_b32_e32 v1, s5
	v_add_co_u32_e32 v0, vcc, s4, v28
	v_addc_co_u32_e32 v1, vcc, v1, v29, vcc
	global_load_dwordx2 v[6:7], v[0:1], off
	ds_read_b32 v0, v3 offset:5044
	ds_read_b32 v1, v36 offset:4
	v_add_f32_e32 v2, v5, v4
	v_sub_f32_e32 v8, v4, v5
	s_waitcnt lgkmcnt(0)
	v_add_f32_e32 v9, v0, v1
	v_sub_f32_e32 v0, v1, v0
	s_waitcnt vmcnt(0)
	v_fma_f32 v4, -v8, v7, v2
	v_fma_f32 v5, v9, v7, -v0
	v_fma_f32 v10, v8, v7, v2
	v_fma_f32 v1, v9, v7, v0
	v_fmac_f32_e32 v4, v6, v9
	v_fmac_f32_e32 v5, v8, v6
	v_fma_f32 v0, -v6, v9, v10
	v_fmac_f32_e32 v1, v8, v6
	ds_write_b64 v3, v[4:5] offset:5040
.LBB0_15:
	s_andn2_saveexec_b64 s[2:3], s[2:3]
	s_cbranch_execz .LBB0_17
; %bb.16:
	v_mov_b32_e32 v2, 0
	ds_read_b64 v[4:5], v2 offset:2520
	s_waitcnt lgkmcnt(0)
	v_add_f32_e32 v4, v4, v4
	v_mul_f32_e32 v5, -2.0, v5
	ds_write_b64 v2, v[4:5] offset:2520
.LBB0_17:
	s_or_b64 exec, exec, s[2:3]
	v_mov_b32_e32 v25, 0
	v_lshlrev_b64 v[30:31], 3, v[24:25]
	v_mov_b32_e32 v2, s5
	v_add_co_u32_e32 v4, vcc, s4, v30
	v_addc_co_u32_e32 v5, vcc, v2, v31, vcc
	global_load_dwordx2 v[6:7], v[4:5], off offset:504
	global_load_dwordx2 v[8:9], v[4:5], off offset:1008
	global_load_dwordx2 v[10:11], v[4:5], off offset:1512
	global_load_dwordx2 v[12:13], v[4:5], off offset:2016
	ds_write_b64 v36, v[0:1]
	ds_read_b64 v[0:1], v36 offset:504
	ds_read_b64 v[4:5], v3 offset:4536
	v_add_u32_e32 v20, 0x800, v36
	v_add_u32_e32 v17, 0x1000, v36
	v_cmp_gt_u32_e32 vcc, 21, v24
	s_waitcnt lgkmcnt(0)
	v_add_f32_e32 v2, v0, v4
	v_add_f32_e32 v14, v5, v1
	v_sub_f32_e32 v15, v0, v4
	v_sub_f32_e32 v4, v1, v5
	s_waitcnt vmcnt(3)
	v_fma_f32 v16, v15, v7, v2
	v_fma_f32 v5, v14, v7, v4
	v_fma_f32 v0, -v15, v7, v2
	v_fma_f32 v1, v14, v7, -v4
	v_fma_f32 v4, -v6, v14, v16
	v_fmac_f32_e32 v5, v15, v6
	v_fmac_f32_e32 v0, v6, v14
	;; [unrolled: 1-line block ×3, first 2 shown]
	ds_write_b64 v36, v[4:5] offset:504
	ds_write_b64 v3, v[0:1] offset:4536
	ds_read_b64 v[0:1], v36 offset:1008
	ds_read_b64 v[4:5], v3 offset:4032
	s_waitcnt lgkmcnt(0)
	v_add_f32_e32 v2, v0, v4
	v_add_f32_e32 v6, v5, v1
	v_sub_f32_e32 v7, v0, v4
	v_sub_f32_e32 v0, v1, v5
	s_waitcnt vmcnt(2)
	v_fma_f32 v14, v7, v9, v2
	v_fma_f32 v1, v6, v9, v0
	v_fma_f32 v4, -v7, v9, v2
	v_fma_f32 v5, v6, v9, -v0
	v_fma_f32 v0, -v8, v6, v14
	v_fmac_f32_e32 v1, v7, v8
	v_fmac_f32_e32 v4, v8, v6
	;; [unrolled: 1-line block ×3, first 2 shown]
	ds_write_b64 v36, v[0:1] offset:1008
	ds_write_b64 v3, v[4:5] offset:4032
	ds_read_b64 v[0:1], v36 offset:1512
	ds_read_b64 v[4:5], v3 offset:3528
	v_add_u32_e32 v2, 0x400, v36
	s_waitcnt lgkmcnt(0)
	v_add_f32_e32 v6, v0, v4
	v_add_f32_e32 v7, v5, v1
	v_sub_f32_e32 v8, v0, v4
	v_sub_f32_e32 v0, v1, v5
	s_waitcnt vmcnt(1)
	v_fma_f32 v9, v8, v11, v6
	v_fma_f32 v1, v7, v11, v0
	v_fma_f32 v4, -v8, v11, v6
	v_fma_f32 v5, v7, v11, -v0
	v_fma_f32 v0, -v10, v7, v9
	v_fmac_f32_e32 v1, v8, v10
	v_fmac_f32_e32 v4, v10, v7
	;; [unrolled: 1-line block ×3, first 2 shown]
	ds_write_b64 v36, v[0:1] offset:1512
	ds_write_b64 v3, v[4:5] offset:3528
	ds_read_b64 v[0:1], v36 offset:2016
	ds_read_b64 v[4:5], v3 offset:3024
	v_lshlrev_b32_e32 v6, 4, v24
	v_add_u32_e32 v8, v36, v6
	s_waitcnt lgkmcnt(0)
	v_add_f32_e32 v6, v0, v4
	v_add_f32_e32 v7, v5, v1
	v_sub_f32_e32 v9, v0, v4
	v_sub_f32_e32 v0, v1, v5
	s_waitcnt vmcnt(0)
	v_fma_f32 v10, v9, v13, v6
	v_fma_f32 v1, v7, v13, v0
	v_fma_f32 v4, -v9, v13, v6
	v_fma_f32 v5, v7, v13, -v0
	v_fma_f32 v0, -v12, v7, v10
	v_fmac_f32_e32 v1, v9, v12
	v_fmac_f32_e32 v4, v12, v7
	;; [unrolled: 1-line block ×3, first 2 shown]
	ds_write_b64 v36, v[0:1] offset:2016
	ds_write_b64 v3, v[4:5] offset:3024
	s_waitcnt lgkmcnt(0)
	; wave barrier
	s_waitcnt lgkmcnt(0)
	s_waitcnt lgkmcnt(0)
	; wave barrier
	s_waitcnt lgkmcnt(0)
	ds_read2_b64 v[4:7], v36 offset1:63
	ds_read2_b64 v[9:12], v2 offset0:82 offset1:145
	ds_read2_b64 v[13:16], v20 offset0:164 offset1:227
	;; [unrolled: 1-line block ×5, first 2 shown]
	s_waitcnt lgkmcnt(4)
	v_add_f32_e32 v17, v4, v9
	s_waitcnt lgkmcnt(3)
	v_add_f32_e32 v18, v9, v13
	v_sub_f32_e32 v19, v10, v14
	v_add_f32_e32 v21, v5, v10
	v_add_f32_e32 v10, v10, v14
	v_sub_f32_e32 v22, v9, v13
	v_add_f32_e32 v9, v11, v15
	v_sub_f32_e32 v25, v12, v16
	v_add_f32_e32 v41, v7, v12
	v_add_f32_e32 v12, v12, v16
	;; [unrolled: 1-line block ×3, first 2 shown]
	v_sub_f32_e32 v42, v11, v15
	v_fma_f32 v4, -0.5, v18, v4
	v_fma_f32 v5, -0.5, v10, v5
	;; [unrolled: 1-line block ×3, first 2 shown]
	v_fmac_f32_e32 v7, -0.5, v12
	v_add_f32_e32 v9, v17, v13
	v_add_f32_e32 v10, v21, v14
	;; [unrolled: 1-line block ×4, first 2 shown]
	v_mov_b32_e32 v13, v4
	v_fmac_f32_e32 v4, 0xbf5db3d7, v19
	v_mov_b32_e32 v14, v5
	v_fmac_f32_e32 v5, 0x3f5db3d7, v22
	;; [unrolled: 2-line block ×4, first 2 shown]
	s_waitcnt lgkmcnt(0)
	v_add_f32_e32 v17, v37, v32
	v_add_f32_e32 v18, v38, v33
	s_waitcnt lgkmcnt(0)
	; wave barrier
	ds_write2_b64 v8, v[4:5], v[6:7] offset0:2 offset1:191
	v_add_f32_e32 v4, v0, v37
	v_add_f32_e32 v5, v1, v38
	v_fma_f32 v0, -0.5, v17, v0
	v_fma_f32 v1, -0.5, v18, v1
	v_sub_f32_e32 v21, v38, v33
	v_sub_f32_e32 v23, v37, v32
	v_add_f32_e32 v38, v39, v34
	v_sub_f32_e32 v41, v40, v35
	v_add_f32_e32 v43, v3, v40
	v_add_f32_e32 v40, v40, v35
	v_mov_b32_e32 v17, v0
	v_mov_b32_e32 v18, v1
	v_add_f32_e32 v37, v2, v39
	v_add_f32_e32 v6, v4, v32
	;; [unrolled: 1-line block ×3, first 2 shown]
	v_fmac_f32_e32 v17, 0x3f5db3d7, v21
	v_fmac_f32_e32 v18, 0xbf5db3d7, v23
	v_add_u32_e32 v32, 0xbd0, v8
	v_fma_f32 v2, -0.5, v38, v2
	v_fmac_f32_e32 v3, -0.5, v40
	v_sub_f32_e32 v39, v39, v34
	ds_write2_b64 v32, v[6:7], v[17:18] offset1:1
	v_mov_b32_e32 v6, v2
	v_mov_b32_e32 v7, v3
	v_add_f32_e32 v4, v37, v34
	v_add_f32_e32 v5, v43, v35
	v_fmac_f32_e32 v13, 0x3f5db3d7, v19
	v_fmac_f32_e32 v14, 0xbf5db3d7, v22
	;; [unrolled: 1-line block ×10, first 2 shown]
	ds_write2_b64 v8, v[9:10], v[13:14] offset1:1
	ds_write2_b64 v8, v[11:12], v[15:16] offset0:189 offset1:190
	ds_write_b64 v8, v[0:1] offset:3040
	s_and_saveexec_b64 s[2:3], vcc
	s_cbranch_execz .LBB0_19
; %bb.18:
	v_add_u32_e32 v0, 0x11b8, v8
	ds_write2_b64 v0, v[4:5], v[6:7] offset1:1
	ds_write_b64 v8, v[2:3] offset:4552
.LBB0_19:
	s_or_b64 exec, exec, s[2:3]
	s_waitcnt lgkmcnt(0)
	; wave barrier
	s_waitcnt lgkmcnt(0)
	ds_read2_b64 v[12:15], v36 offset1:63
	ds_read2_b64 v[8:11], v36 offset0:126 offset1:210
	ds_read2_b64 v[16:19], v20 offset0:164 offset1:227
	;; [unrolled: 1-line block ×3, first 2 shown]
	ds_read_b64 v[0:1], v36 offset:4368
	s_and_saveexec_b64 s[2:3], vcc
	s_cbranch_execz .LBB0_21
; %bb.20:
	v_add_u32_e32 v2, 0x500, v36
	ds_read2_b64 v[4:7], v2 offset0:29 offset1:239
	ds_read_b64 v[2:3], v36 offset:4872
.LBB0_21:
	s_or_b64 exec, exec, s[2:3]
	s_movk_i32 s2, 0xab
	v_add_u16_e32 v25, 0x7e, v24
	v_mul_lo_u16_sdwa v32, v25, s2 dst_sel:DWORD dst_unused:UNUSED_PAD src0_sel:BYTE_0 src1_sel:DWORD
	v_lshrrev_b16_e32 v35, 9, v32
	v_mul_lo_u16_e32 v32, 3, v35
	v_mov_b32_e32 v34, 4
	v_sub_u16_e32 v53, v25, v32
	v_lshlrev_b32_sdwa v25, v34, v53 dst_sel:DWORD dst_unused:UNUSED_PAD src0_sel:DWORD src1_sel:BYTE_0
	global_load_dwordx4 v[37:40], v25, s[8:9]
	v_add_u16_e32 v25, 63, v24
	v_mul_lo_u16_sdwa v32, v25, s2 dst_sel:DWORD dst_unused:UNUSED_PAD src0_sel:BYTE_0 src1_sel:DWORD
	v_lshrrev_b16_e32 v54, 9, v32
	v_mul_lo_u16_e32 v32, 3, v54
	v_sub_u16_e32 v55, v25, v32
	v_mul_lo_u16_sdwa v33, v24, s2 dst_sel:DWORD dst_unused:UNUSED_PAD src0_sel:BYTE_0 src1_sel:DWORD
	v_lshlrev_b32_sdwa v32, v34, v55 dst_sel:DWORD dst_unused:UNUSED_PAD src0_sel:DWORD src1_sel:BYTE_0
	v_lshrrev_b16_e32 v56, 9, v33
	global_load_dwordx4 v[41:44], v32, s[8:9]
	v_mul_lo_u16_e32 v32, 3, v56
	v_sub_u16_e32 v57, v24, v32
	v_lshlrev_b32_sdwa v32, v34, v57 dst_sel:DWORD dst_unused:UNUSED_PAD src0_sel:DWORD src1_sel:BYTE_0
	v_add_u16_e32 v33, 0xbd, v24
	global_load_dwordx4 v[45:48], v32, s[8:9]
	v_mul_lo_u16_sdwa v32, v33, s2 dst_sel:DWORD dst_unused:UNUSED_PAD src0_sel:BYTE_0 src1_sel:DWORD
	v_lshrrev_b16_e32 v32, 9, v32
	v_mul_lo_u16_e32 v49, 3, v32
	v_sub_u16_e32 v33, v33, v49
	v_lshlrev_b32_sdwa v34, v34, v33 dst_sel:DWORD dst_unused:UNUSED_PAD src0_sel:DWORD src1_sel:BYTE_0
	global_load_dwordx4 v[49:52], v34, s[8:9]
	v_mov_b32_e32 v34, 3
	v_mul_u32_u24_e32 v56, 0x48, v56
	v_lshlrev_b32_sdwa v57, v34, v57 dst_sel:DWORD dst_unused:UNUSED_PAD src0_sel:DWORD src1_sel:BYTE_0
	v_add3_u32 v56, 0, v56, v57
	s_waitcnt lgkmcnt(0)
	; wave barrier
	s_waitcnt vmcnt(3) lgkmcnt(0)
	v_mul_f32_e32 v57, v40, v1
	v_mul_f32_e32 v40, v40, v0
	;; [unrolled: 1-line block ×4, first 2 shown]
	v_fma_f32 v57, v39, v0, -v57
	v_fmac_f32_e32 v40, v39, v1
	v_fmac_f32_e32 v38, v37, v23
	s_waitcnt vmcnt(2)
	v_mul_f32_e32 v59, v42, v21
	v_mul_f32_e32 v60, v44, v19
	;; [unrolled: 1-line block ×3, first 2 shown]
	v_fma_f32 v44, v37, v22, -v58
	v_mul_f32_e32 v42, v42, v20
	s_waitcnt vmcnt(1)
	v_mul_f32_e32 v0, v48, v17
	v_mul_f32_e32 v1, v48, v16
	;; [unrolled: 1-line block ×4, first 2 shown]
	v_fma_f32 v46, v41, v20, -v59
	v_fma_f32 v0, v47, v16, -v0
	s_waitcnt vmcnt(0)
	v_mul_f32_e32 v37, v3, v52
	v_mul_f32_e32 v20, v2, v52
	v_fmac_f32_e32 v1, v47, v17
	v_fma_f32 v16, v45, v10, -v22
	v_fmac_f32_e32 v23, v45, v11
	v_fmac_f32_e32 v42, v41, v21
	v_mul_f32_e32 v21, v6, v50
	v_fma_f32 v10, v2, v51, -v37
	v_fmac_f32_e32 v20, v3, v51
	v_add_f32_e32 v2, v13, v23
	v_add_f32_e32 v3, v23, v1
	;; [unrolled: 1-line block ×3, first 2 shown]
	v_mul_f32_e32 v41, v7, v50
	v_fma_f32 v18, v43, v18, -v60
	v_fmac_f32_e32 v39, v43, v19
	v_fmac_f32_e32 v21, v7, v49
	v_sub_f32_e32 v7, v23, v1
	v_add_f32_e32 v11, v12, v16
	v_sub_f32_e32 v19, v16, v0
	v_add_f32_e32 v16, v15, v42
	v_add_f32_e32 v1, v2, v1
	v_fma_f32 v2, -0.5, v17, v12
	v_fma_f32 v3, -0.5, v3, v13
	v_fma_f32 v6, v6, v49, -v41
	v_add_f32_e32 v41, v46, v18
	v_add_f32_e32 v12, v16, v39
	v_mov_b32_e32 v16, v2
	v_mov_b32_e32 v17, v3
	v_add_f32_e32 v37, v14, v46
	v_add_f32_e32 v0, v11, v0
	v_fma_f32 v14, -0.5, v41, v14
	v_fmac_f32_e32 v16, 0x3f5db3d7, v7
	v_fmac_f32_e32 v17, 0xbf5db3d7, v19
	v_sub_f32_e32 v22, v42, v39
	ds_write2_b64 v56, v[0:1], v[16:17] offset1:3
	v_mov_b32_e32 v16, v14
	v_add_f32_e32 v0, v8, v44
	v_add_f32_e32 v23, v42, v39
	v_fmac_f32_e32 v14, 0xbf5db3d7, v22
	v_fmac_f32_e32 v16, 0x3f5db3d7, v22
	v_add_f32_e32 v22, v0, v57
	v_add_f32_e32 v0, v9, v38
	v_fmac_f32_e32 v15, -0.5, v23
	v_add_f32_e32 v23, v0, v40
	v_add_f32_e32 v0, v38, v40
	v_fmac_f32_e32 v9, -0.5, v0
	v_fmac_f32_e32 v3, 0x3f5db3d7, v19
	v_add_f32_e32 v1, v44, v57
	v_sub_f32_e32 v0, v44, v57
	v_mov_b32_e32 v19, v9
	v_fmac_f32_e32 v2, 0xbf5db3d7, v7
	v_fma_f32 v8, -0.5, v1, v8
	v_fmac_f32_e32 v19, 0xbf5db3d7, v0
	v_fmac_f32_e32 v9, 0x3f5db3d7, v0
	v_add_f32_e32 v0, v6, v10
	v_sub_f32_e32 v42, v46, v18
	v_add_f32_e32 v11, v37, v18
	v_sub_f32_e32 v1, v38, v40
	v_mov_b32_e32 v18, v8
	ds_write_b64 v56, v[2:3] offset:48
	v_fma_f32 v2, -0.5, v0, v4
	v_fmac_f32_e32 v18, 0x3f5db3d7, v1
	v_fmac_f32_e32 v8, 0xbf5db3d7, v1
	v_mov_b32_e32 v0, v2
	v_sub_f32_e32 v1, v21, v20
	v_fmac_f32_e32 v0, 0x3f5db3d7, v1
	v_fmac_f32_e32 v2, 0xbf5db3d7, v1
	v_add_f32_e32 v1, v21, v20
	v_fma_f32 v3, -0.5, v1, v5
	v_mov_b32_e32 v1, v3
	v_sub_f32_e32 v7, v6, v10
	v_mov_b32_e32 v17, v15
	v_fmac_f32_e32 v1, 0xbf5db3d7, v7
	v_fmac_f32_e32 v3, 0x3f5db3d7, v7
	v_mul_u32_u24_e32 v7, 0x48, v54
	v_lshlrev_b32_sdwa v13, v34, v55 dst_sel:DWORD dst_unused:UNUSED_PAD src0_sel:DWORD src1_sel:BYTE_0
	v_fmac_f32_e32 v17, 0xbf5db3d7, v42
	v_add3_u32 v7, 0, v7, v13
	v_fmac_f32_e32 v15, 0x3f5db3d7, v42
	ds_write2_b64 v7, v[11:12], v[16:17] offset1:3
	ds_write_b64 v7, v[14:15] offset:48
	v_mul_u32_u24_e32 v7, 0x48, v35
	v_lshlrev_b32_sdwa v11, v34, v53 dst_sel:DWORD dst_unused:UNUSED_PAD src0_sel:DWORD src1_sel:BYTE_0
	v_add3_u32 v7, 0, v7, v11
	ds_write2_b64 v7, v[22:23], v[18:19] offset1:3
	ds_write_b64 v7, v[8:9] offset:48
	s_and_saveexec_b64 s[2:3], vcc
	s_cbranch_execz .LBB0_23
; %bb.22:
	v_add_f32_e32 v5, v5, v21
	v_add_f32_e32 v4, v4, v6
	v_mul_u32_u24_e32 v6, 0x48, v32
	v_lshlrev_b32_sdwa v7, v34, v33 dst_sel:DWORD dst_unused:UNUSED_PAD src0_sel:DWORD src1_sel:BYTE_0
	v_add_f32_e32 v5, v5, v20
	v_add_f32_e32 v4, v4, v10
	v_add3_u32 v6, 0, v6, v7
	ds_write2_b64 v6, v[4:5], v[0:1] offset1:3
	ds_write_b64 v6, v[2:3] offset:48
.LBB0_23:
	s_or_b64 exec, exec, s[2:3]
	v_mov_b32_e32 v4, 57
	v_mul_lo_u16_sdwa v5, v24, v4 dst_sel:DWORD dst_unused:UNUSED_PAD src0_sel:BYTE_0 src1_sel:DWORD
	v_lshrrev_b16_e32 v35, 9, v5
	v_mul_lo_u16_e32 v5, 9, v35
	v_sub_u16_e32 v57, v24, v5
	v_mov_b32_e32 v5, 5
	v_mul_lo_u16_sdwa v4, v25, v4 dst_sel:DWORD dst_unused:UNUSED_PAD src0_sel:BYTE_0 src1_sel:DWORD
	v_lshlrev_b32_sdwa v6, v5, v57 dst_sel:DWORD dst_unused:UNUSED_PAD src0_sel:DWORD src1_sel:BYTE_0
	v_lshrrev_b16_e32 v58, 9, v4
	s_waitcnt lgkmcnt(0)
	; wave barrier
	s_waitcnt lgkmcnt(0)
	global_load_dwordx4 v[10:13], v6, s[8:9] offset:48
	global_load_dwordx4 v[14:17], v6, s[8:9] offset:64
	v_mul_lo_u16_e32 v4, 9, v58
	v_sub_u16_e32 v59, v25, v4
	v_lshlrev_b32_sdwa v4, v5, v59 dst_sel:DWORD dst_unused:UNUSED_PAD src0_sel:DWORD src1_sel:BYTE_0
	global_load_dwordx4 v[18:21], v4, s[8:9] offset:48
	global_load_dwordx4 v[37:40], v4, s[8:9] offset:64
	v_add_u32_e32 v9, 0x400, v36
	ds_read2_b64 v[4:7], v36 offset1:63
	ds_read2_b64 v[41:44], v36 offset0:126 offset1:189
	v_add_u32_e32 v8, 0x800, v36
	v_add_u32_e32 v22, 0xc00, v36
	ds_read2_b64 v[45:48], v9 offset0:124 offset1:187
	ds_read2_b64 v[49:52], v8 offset0:122 offset1:185
	ds_read2_b64 v[53:56], v22 offset0:120 offset1:183
	v_mul_u32_u24_e32 v35, 0x168, v35
	s_waitcnt lgkmcnt(0)
	; wave barrier
	s_waitcnt lgkmcnt(0)
	v_cmp_gt_u32_e32 vcc, 27, v24
	s_waitcnt vmcnt(3)
	v_mul_f32_e32 v22, v11, v42
	v_mul_f32_e32 v23, v11, v41
	;; [unrolled: 1-line block ×4, first 2 shown]
	s_waitcnt vmcnt(2)
	v_mul_f32_e32 v13, v15, v50
	v_mul_f32_e32 v33, v15, v49
	;; [unrolled: 1-line block ×4, first 2 shown]
	v_fma_f32 v22, v10, v41, -v22
	v_fma_f32 v41, v12, v45, -v11
	;; [unrolled: 1-line block ×4, first 2 shown]
	v_fmac_f32_e32 v32, v12, v46
	v_fmac_f32_e32 v33, v14, v50
	v_fmac_f32_e32 v60, v16, v54
	v_sub_f32_e32 v12, v22, v41
	v_sub_f32_e32 v14, v15, v13
	v_add_f32_e32 v16, v22, v15
	s_waitcnt vmcnt(1)
	v_mul_f32_e32 v17, v19, v44
	v_mul_f32_e32 v61, v19, v43
	;; [unrolled: 1-line block ×4, first 2 shown]
	s_waitcnt vmcnt(0)
	v_mul_f32_e32 v21, v52, v38
	v_fmac_f32_e32 v23, v10, v42
	v_mul_f32_e32 v38, v51, v38
	v_mul_f32_e32 v10, v56, v40
	v_add_f32_e32 v46, v12, v14
	v_fma_f32 v12, -0.5, v16, v4
	v_mul_f32_e32 v40, v55, v40
	v_fma_f32 v42, v18, v43, -v17
	v_fmac_f32_e32 v61, v18, v44
	v_fma_f32 v43, v47, v20, -v19
	v_fmac_f32_e32 v62, v48, v20
	;; [unrolled: 2-line block ×3, first 2 shown]
	v_fma_f32 v37, v55, v39, -v10
	v_add_f32_e32 v10, v4, v22
	v_add_f32_e32 v11, v41, v13
	v_sub_f32_e32 v20, v32, v33
	v_mov_b32_e32 v16, v12
	v_fmac_f32_e32 v40, v56, v39
	v_sub_f32_e32 v17, v23, v60
	v_sub_f32_e32 v18, v41, v22
	;; [unrolled: 1-line block ×3, first 2 shown]
	v_add_f32_e32 v21, v5, v23
	v_add_f32_e32 v39, v32, v33
	;; [unrolled: 1-line block ×3, first 2 shown]
	v_fma_f32 v10, -0.5, v11, v4
	v_fmac_f32_e32 v12, 0x3f737871, v20
	v_fmac_f32_e32 v16, 0xbf737871, v20
	v_add_f32_e32 v4, v18, v19
	v_add_f32_e32 v18, v21, v32
	v_fma_f32 v11, -0.5, v39, v5
	v_add_f32_e32 v19, v45, v13
	v_mov_b32_e32 v14, v10
	v_fmac_f32_e32 v12, 0xbf167918, v17
	v_fmac_f32_e32 v16, 0x3f167918, v17
	;; [unrolled: 1-line block ×3, first 2 shown]
	v_add_f32_e32 v21, v18, v33
	v_add_f32_e32 v18, v19, v15
	v_fmac_f32_e32 v14, 0x3f737871, v17
	v_fmac_f32_e32 v12, 0x3e9e377a, v4
	;; [unrolled: 1-line block ×3, first 2 shown]
	v_sub_f32_e32 v4, v22, v15
	v_mov_b32_e32 v15, v11
	v_fmac_f32_e32 v10, 0xbf167918, v20
	v_fmac_f32_e32 v14, 0x3f167918, v20
	;; [unrolled: 1-line block ×3, first 2 shown]
	v_sub_f32_e32 v20, v41, v13
	v_sub_f32_e32 v13, v23, v32
	;; [unrolled: 1-line block ×3, first 2 shown]
	v_fmac_f32_e32 v11, 0x3f737871, v4
	v_fmac_f32_e32 v15, 0xbf167918, v20
	v_add_f32_e32 v13, v13, v17
	v_fmac_f32_e32 v11, 0x3f167918, v20
	v_fmac_f32_e32 v15, 0x3e9e377a, v13
	v_fmac_f32_e32 v11, 0x3e9e377a, v13
	v_add_f32_e32 v13, v23, v60
	v_fma_f32 v13, -0.5, v13, v5
	v_mov_b32_e32 v17, v13
	v_fmac_f32_e32 v17, 0x3f737871, v20
	v_fmac_f32_e32 v13, 0xbf737871, v20
	v_fmac_f32_e32 v17, 0xbf167918, v4
	v_fmac_f32_e32 v13, 0x3f167918, v4
	v_add_f32_e32 v4, v6, v42
	v_add_f32_e32 v4, v4, v43
	;; [unrolled: 1-line block ×4, first 2 shown]
	v_sub_f32_e32 v5, v32, v23
	v_sub_f32_e32 v21, v33, v60
	v_add_f32_e32 v20, v4, v37
	v_add_f32_e32 v4, v43, v44
	;; [unrolled: 1-line block ×3, first 2 shown]
	v_fma_f32 v32, -0.5, v4, v6
	v_fmac_f32_e32 v17, 0x3e9e377a, v5
	v_fmac_f32_e32 v13, 0x3e9e377a, v5
	v_sub_f32_e32 v5, v61, v40
	v_mov_b32_e32 v22, v32
	v_fmac_f32_e32 v22, 0x3f737871, v5
	v_sub_f32_e32 v21, v62, v38
	v_sub_f32_e32 v4, v42, v43
	;; [unrolled: 1-line block ×3, first 2 shown]
	v_fmac_f32_e32 v32, 0xbf737871, v5
	v_fmac_f32_e32 v22, 0x3f167918, v21
	v_add_f32_e32 v4, v4, v23
	v_fmac_f32_e32 v32, 0xbf167918, v21
	v_fmac_f32_e32 v22, 0x3e9e377a, v4
	;; [unrolled: 1-line block ×3, first 2 shown]
	v_add_f32_e32 v4, v42, v37
	v_fma_f32 v6, -0.5, v4, v6
	v_mov_b32_e32 v4, v6
	v_fmac_f32_e32 v4, 0xbf737871, v21
	v_fmac_f32_e32 v6, 0x3f737871, v21
	;; [unrolled: 1-line block ×4, first 2 shown]
	v_add_f32_e32 v5, v7, v61
	v_add_f32_e32 v5, v5, v62
	;; [unrolled: 1-line block ×3, first 2 shown]
	v_sub_f32_e32 v23, v43, v42
	v_sub_f32_e32 v33, v44, v37
	v_add_f32_e32 v21, v5, v40
	v_add_f32_e32 v5, v62, v38
	;; [unrolled: 1-line block ×3, first 2 shown]
	v_fma_f32 v33, -0.5, v5, v7
	v_fmac_f32_e32 v4, 0x3e9e377a, v23
	v_fmac_f32_e32 v6, 0x3e9e377a, v23
	v_sub_f32_e32 v37, v42, v37
	v_mov_b32_e32 v23, v33
	v_fmac_f32_e32 v23, 0xbf737871, v37
	v_sub_f32_e32 v39, v43, v44
	v_sub_f32_e32 v5, v61, v62
	;; [unrolled: 1-line block ×3, first 2 shown]
	v_fmac_f32_e32 v33, 0x3f737871, v37
	v_fmac_f32_e32 v23, 0xbf167918, v39
	v_add_f32_e32 v5, v5, v41
	v_fmac_f32_e32 v33, 0x3f167918, v39
	v_fmac_f32_e32 v23, 0x3e9e377a, v5
	;; [unrolled: 1-line block ×3, first 2 shown]
	v_add_f32_e32 v5, v61, v40
	v_fmac_f32_e32 v7, -0.5, v5
	v_mov_b32_e32 v5, v7
	v_fmac_f32_e32 v5, 0x3f737871, v39
	v_fmac_f32_e32 v7, 0xbf737871, v39
	v_fmac_f32_e32 v5, 0xbf167918, v37
	v_fmac_f32_e32 v7, 0x3f167918, v37
	v_lshlrev_b32_sdwa v37, v34, v57 dst_sel:DWORD dst_unused:UNUSED_PAD src0_sel:DWORD src1_sel:BYTE_0
	v_fmac_f32_e32 v10, 0x3e9e377a, v46
	v_fmac_f32_e32 v14, 0x3e9e377a, v46
	v_add3_u32 v35, 0, v35, v37
	v_sub_f32_e32 v41, v62, v61
	v_sub_f32_e32 v38, v38, v40
	ds_write2_b64 v35, v[18:19], v[14:15] offset1:9
	ds_write2_b64 v35, v[16:17], v[12:13] offset0:18 offset1:27
	ds_write_b64 v35, v[10:11] offset:288
	v_mul_u32_u24_e32 v10, 0x168, v58
	v_lshlrev_b32_sdwa v11, v34, v59 dst_sel:DWORD dst_unused:UNUSED_PAD src0_sel:DWORD src1_sel:BYTE_0
	v_add_f32_e32 v38, v41, v38
	v_add3_u32 v10, 0, v10, v11
	v_fmac_f32_e32 v5, 0x3e9e377a, v38
	v_fmac_f32_e32 v7, 0x3e9e377a, v38
	ds_write2_b64 v10, v[20:21], v[22:23] offset1:9
	ds_write2_b64 v10, v[4:5], v[6:7] offset0:18 offset1:27
	ds_write_b64 v10, v[32:33] offset:288
	s_waitcnt lgkmcnt(0)
	; wave barrier
	s_waitcnt lgkmcnt(0)
	ds_read2_b64 v[12:15], v36 offset1:90
	ds_read2_b64 v[20:23], v9 offset0:52 offset1:142
	ds_read2_b64 v[16:19], v8 offset0:104 offset1:194
	ds_read_b64 v[34:35], v36 offset:4320
                                        ; implicit-def: $vgpr11
	s_and_saveexec_b64 s[2:3], vcc
	s_cbranch_execz .LBB0_25
; %bb.24:
	ds_read2_b64 v[4:7], v36 offset0:63 offset1:153
	ds_read2_b32 v[32:33], v9 offset0:230 offset1:231
	ds_read2_b64 v[0:3], v8 offset0:77 offset1:167
	v_add_u32_e32 v8, 0x1000, v36
	ds_read2_b64 v[8:11], v8 offset0:1 offset1:91
.LBB0_25:
	s_or_b64 exec, exec, s[2:3]
	v_subrev_u32_e32 v37, 45, v24
	v_cmp_gt_u32_e64 s[2:3], 45, v24
	v_cndmask_b32_e64 v51, v37, v24, s[2:3]
	v_mul_i32_i24_e32 v37, 6, v51
	v_mov_b32_e32 v38, 0
	v_lshlrev_b64 v[37:38], 3, v[37:38]
	v_mov_b32_e32 v39, s9
	v_add_co_u32_e64 v49, s[2:3], s8, v37
	v_addc_co_u32_e64 v50, s[2:3], v39, v38, s[2:3]
	global_load_dwordx4 v[37:40], v[49:50], off offset:336
	global_load_dwordx4 v[41:44], v[49:50], off offset:352
	;; [unrolled: 1-line block ×3, first 2 shown]
	s_mov_b32 s4, 0x3f5ff5aa
	s_mov_b32 s5, 0x3f3bfb3b
	;; [unrolled: 1-line block ×4, first 2 shown]
	v_cmp_lt_u32_e64 s[2:3], 44, v24
	s_waitcnt lgkmcnt(0)
	; wave barrier
	s_waitcnt vmcnt(2) lgkmcnt(0)
	v_mul_f32_e32 v49, v38, v15
	v_mul_f32_e32 v38, v38, v14
	;; [unrolled: 1-line block ×4, first 2 shown]
	s_waitcnt vmcnt(1)
	v_mul_f32_e32 v53, v44, v17
	v_mul_f32_e32 v44, v44, v16
	s_waitcnt vmcnt(0)
	v_mul_f32_e32 v54, v46, v19
	v_mul_f32_e32 v46, v46, v18
	;; [unrolled: 1-line block ×6, first 2 shown]
	v_fma_f32 v14, v37, v14, -v49
	v_fmac_f32_e32 v38, v37, v15
	v_fma_f32 v15, v39, v20, -v50
	v_fmac_f32_e32 v40, v39, v21
	v_fmac_f32_e32 v44, v43, v17
	v_fma_f32 v17, v45, v18, -v54
	v_fmac_f32_e32 v46, v45, v19
	v_fma_f32 v18, v47, v34, -v55
	;; [unrolled: 2-line block ×4, first 2 shown]
	v_add_f32_e32 v19, v14, v18
	v_add_f32_e32 v21, v38, v48
	;; [unrolled: 1-line block ×4, first 2 shown]
	v_sub_f32_e32 v14, v14, v18
	v_sub_f32_e32 v18, v38, v48
	;; [unrolled: 1-line block ×3, first 2 shown]
	v_add_f32_e32 v34, v20, v16
	v_add_f32_e32 v35, v42, v44
	v_sub_f32_e32 v16, v16, v20
	v_add_f32_e32 v37, v22, v19
	v_add_f32_e32 v38, v23, v21
	v_sub_f32_e32 v17, v40, v46
	v_sub_f32_e32 v20, v44, v42
	;; [unrolled: 1-line block ×8, first 2 shown]
	v_add_f32_e32 v41, v16, v15
	v_sub_f32_e32 v43, v16, v15
	v_add_f32_e32 v34, v34, v37
	v_add_f32_e32 v35, v35, v38
	;; [unrolled: 1-line block ×3, first 2 shown]
	v_sub_f32_e32 v44, v20, v17
	v_sub_f32_e32 v16, v14, v16
	;; [unrolled: 1-line block ×4, first 2 shown]
	v_add_f32_e32 v14, v41, v14
	v_mul_f32_e32 v19, 0x3f4a47b2, v19
	v_mul_f32_e32 v21, 0x3f4a47b2, v21
	;; [unrolled: 1-line block ×5, first 2 shown]
	v_add_f32_e32 v12, v34, v12
	v_add_f32_e32 v13, v35, v13
	v_sub_f32_e32 v20, v18, v20
	v_add_f32_e32 v18, v42, v18
	v_mul_f32_e32 v42, 0xbf08b237, v44
	v_mul_f32_e32 v43, 0x3f5ff5aa, v15
	;; [unrolled: 1-line block ×3, first 2 shown]
	v_fma_f32 v37, v39, s5, -v37
	v_fma_f32 v38, v40, s5, -v38
	v_fma_f32 v39, v39, s6, -v19
	v_fmac_f32_e32 v19, 0x3d64c772, v22
	v_fma_f32 v22, v40, s6, -v21
	v_fmac_f32_e32 v21, 0x3d64c772, v23
	v_fma_f32 v23, v15, s4, -v41
	v_mov_b32_e32 v15, v12
	v_mov_b32_e32 v40, v13
	v_fmac_f32_e32 v15, 0xbf955555, v34
	v_fmac_f32_e32 v40, 0xbf955555, v35
	v_fma_f32 v35, v16, s7, -v43
	v_fma_f32 v43, v20, s7, -v44
	;; [unrolled: 1-line block ×3, first 2 shown]
	v_fmac_f32_e32 v42, 0x3eae86e6, v20
	v_add_f32_e32 v20, v37, v15
	v_add_f32_e32 v37, v39, v15
	v_fmac_f32_e32 v43, 0x3ee1c552, v18
	v_fmac_f32_e32 v41, 0x3eae86e6, v16
	v_add_f32_e32 v45, v21, v40
	v_add_f32_e32 v21, v38, v40
	;; [unrolled: 1-line block ×3, first 2 shown]
	v_fmac_f32_e32 v23, 0x3ee1c552, v14
	v_fmac_f32_e32 v35, 0x3ee1c552, v14
	v_add_f32_e32 v16, v43, v37
	v_sub_f32_e32 v22, v37, v43
	v_mov_b32_e32 v37, 0x9d8
	v_add_f32_e32 v44, v19, v15
	v_fmac_f32_e32 v41, 0x3ee1c552, v14
	v_fmac_f32_e32 v42, 0x3ee1c552, v18
	v_sub_f32_e32 v17, v38, v35
	v_add_f32_e32 v19, v23, v21
	v_sub_f32_e32 v21, v21, v23
	v_add_f32_e32 v23, v35, v38
	v_cndmask_b32_e64 v37, 0, v37, s[2:3]
	v_lshlrev_b32_e32 v38, 3, v51
	v_fmac_f32_e32 v34, 0x3ee1c552, v18
	v_add_f32_e32 v14, v42, v44
	v_sub_f32_e32 v15, v45, v41
	v_add3_u32 v37, 0, v37, v38
	v_sub_f32_e32 v18, v20, v34
	v_add_f32_e32 v20, v34, v20
	v_sub_f32_e32 v34, v44, v42
	v_add_f32_e32 v35, v41, v45
	ds_write2_b64 v37, v[12:13], v[14:15] offset1:45
	ds_write2_b64 v37, v[16:17], v[18:19] offset0:90 offset1:135
	ds_write2_b64 v37, v[20:21], v[22:23] offset0:180 offset1:225
	ds_write_b64 v37, v[34:35] offset:2160
	s_and_saveexec_b64 s[2:3], vcc
	s_cbranch_execz .LBB0_27
; %bb.26:
	s_movk_i32 s10, 0x6d
	v_mul_lo_u16_sdwa v12, v25, s10 dst_sel:DWORD dst_unused:UNUSED_PAD src0_sel:BYTE_0 src1_sel:DWORD
	v_sub_u16_sdwa v13, v25, v12 dst_sel:DWORD dst_unused:UNUSED_PAD src0_sel:DWORD src1_sel:BYTE_1
	v_lshrrev_b16_e32 v13, 1, v13
	v_and_b32_e32 v13, 0x7f, v13
	v_add_u16_sdwa v12, v13, v12 dst_sel:DWORD dst_unused:UNUSED_PAD src0_sel:DWORD src1_sel:BYTE_1
	v_lshrrev_b16_e32 v12, 5, v12
	v_mul_lo_u16_e32 v12, 45, v12
	v_sub_u16_e32 v12, v25, v12
	v_and_b32_e32 v25, 0xff, v12
	v_mul_u32_u24_e32 v12, 6, v25
	v_lshlrev_b32_e32 v34, 3, v12
	global_load_dwordx4 v[12:15], v34, s[8:9] offset:336
	global_load_dwordx4 v[16:19], v34, s[8:9] offset:368
	global_load_dwordx4 v[20:23], v34, s[8:9] offset:352
	s_waitcnt vmcnt(2)
	v_mul_f32_e32 v34, v7, v13
	s_waitcnt vmcnt(1)
	v_mul_f32_e32 v35, v11, v19
	;; [unrolled: 2-line block ×3, first 2 shown]
	v_mul_f32_e32 v38, v1, v21
	v_mul_f32_e32 v39, v33, v15
	;; [unrolled: 1-line block ×9, first 2 shown]
	v_fma_f32 v6, v6, v12, -v34
	v_fma_f32 v10, v10, v18, -v35
	;; [unrolled: 1-line block ×6, first 2 shown]
	v_fmac_f32_e32 v19, v11, v18
	v_fmac_f32_e32 v13, v7, v12
	;; [unrolled: 1-line block ×6, first 2 shown]
	v_sub_f32_e32 v1, v6, v10
	v_sub_f32_e32 v3, v2, v0
	;; [unrolled: 1-line block ×3, first 2 shown]
	v_add_f32_e32 v9, v13, v19
	v_add_f32_e32 v11, v21, v23
	;; [unrolled: 1-line block ×6, first 2 shown]
	v_sub_f32_e32 v8, v13, v19
	v_sub_f32_e32 v10, v23, v21
	;; [unrolled: 1-line block ×5, first 2 shown]
	v_add_f32_e32 v3, v3, v7
	v_sub_f32_e32 v16, v9, v11
	v_add_f32_e32 v18, v12, v9
	v_sub_f32_e32 v19, v6, v0
	;; [unrolled: 2-line block ×3, first 2 shown]
	v_sub_f32_e32 v20, v0, v2
	v_sub_f32_e32 v9, v12, v9
	;; [unrolled: 1-line block ×3, first 2 shown]
	v_mul_f32_e32 v12, 0xbf08b237, v15
	v_add_f32_e32 v15, v3, v1
	v_mul_f32_e32 v2, 0x3f4a47b2, v16
	v_add_f32_e32 v3, v11, v18
	;; [unrolled: 2-line block ×3, first 2 shown]
	v_mov_b32_e32 v33, v2
	v_add_f32_e32 v0, v4, v19
	v_sub_f32_e32 v22, v8, v10
	v_sub_f32_e32 v23, v10, v13
	v_add_f32_e32 v10, v10, v13
	v_sub_f32_e32 v7, v7, v1
	v_mul_f32_e32 v16, 0x3d64c772, v17
	v_fmac_f32_e32 v33, 0x3d64c772, v17
	v_mov_b32_e32 v17, v0
	v_mul_f32_e32 v21, 0xbf08b237, v23
	v_add_f32_e32 v10, v10, v8
	v_mul_f32_e32 v23, 0x3f5ff5aa, v7
	v_mov_b32_e32 v32, v12
	v_add_f32_e32 v1, v5, v3
	v_fmac_f32_e32 v17, 0xbf955555, v19
	v_fma_f32 v4, v6, s6, -v11
	v_sub_f32_e32 v8, v13, v8
	v_mul_f32_e32 v18, 0x3d64c772, v20
	v_mov_b32_e32 v5, v11
	v_mov_b32_e32 v34, v21
	v_fma_f32 v23, v14, s7, -v23
	v_fmac_f32_e32 v32, 0x3eae86e6, v14
	v_mov_b32_e32 v14, v1
	v_add_f32_e32 v35, v4, v17
	v_mul_f32_e32 v4, 0x3f5ff5aa, v8
	v_fma_f32 v2, v9, s6, -v2
	v_fmac_f32_e32 v5, 0x3d64c772, v20
	v_fmac_f32_e32 v34, 0x3eae86e6, v22
	;; [unrolled: 1-line block ×3, first 2 shown]
	v_fma_f32 v13, v22, s7, -v4
	v_fma_f32 v9, v9, s5, -v16
	;; [unrolled: 1-line block ×4, first 2 shown]
	v_fmac_f32_e32 v32, 0x3ee1c552, v15
	v_fmac_f32_e32 v34, 0x3ee1c552, v10
	v_add_f32_e32 v19, v33, v14
	v_add_f32_e32 v20, v5, v17
	;; [unrolled: 1-line block ×3, first 2 shown]
	v_fmac_f32_e32 v13, 0x3ee1c552, v10
	v_add_f32_e32 v9, v9, v14
	v_fma_f32 v11, v7, s4, -v12
	v_fmac_f32_e32 v8, 0x3ee1c552, v10
	v_add_f32_e32 v10, v6, v17
	v_lshl_add_u32 v14, v25, 3, 0
	v_fmac_f32_e32 v23, 0x3ee1c552, v15
	v_sub_f32_e32 v4, v35, v13
	v_fmac_f32_e32 v11, 0x3ee1c552, v15
	v_add_f32_e32 v6, v8, v10
	v_sub_f32_e32 v8, v10, v8
	v_add_f32_e32 v10, v13, v35
	v_sub_f32_e32 v13, v19, v32
	v_add_f32_e32 v12, v34, v20
	v_add_u32_e32 v15, 0x800, v14
	v_add_f32_e32 v5, v23, v33
	v_sub_f32_e32 v7, v9, v11
	v_add_f32_e32 v9, v11, v9
	v_sub_f32_e32 v11, v33, v23
	ds_write2_b64 v15, v[0:1], v[12:13] offset0:59 offset1:104
	ds_write2_b64 v15, v[10:11], v[8:9] offset0:149 offset1:194
	v_add_u32_e32 v0, 0xc00, v14
	v_add_f32_e32 v3, v32, v19
	v_sub_f32_e32 v2, v20, v34
	ds_write2_b64 v0, v[6:7], v[4:5] offset0:111 offset1:156
	ds_write_b64 v14, v[2:3] offset:4680
.LBB0_27:
	s_or_b64 exec, exec, s[2:3]
	v_mov_b32_e32 v2, s9
	v_add_co_u32_e32 v0, vcc, s8, v28
	v_addc_co_u32_e32 v1, vcc, v2, v29, vcc
	s_waitcnt lgkmcnt(0)
	; wave barrier
	s_waitcnt lgkmcnt(0)
	global_load_dwordx2 v[20:21], v[0:1], off offset:2496
	v_add_co_u32_e32 v0, vcc, s8, v30
	v_addc_co_u32_e32 v1, vcc, v2, v31, vcc
	s_movk_i32 s2, 0x1000
	global_load_dwordx2 v[22:23], v[0:1], off offset:3000
	global_load_dwordx2 v[28:29], v[0:1], off offset:3504
	;; [unrolled: 1-line block ×3, first 2 shown]
	v_add_co_u32_e32 v0, vcc, s2, v0
	v_addc_co_u32_e32 v1, vcc, 0, v1, vcc
	global_load_dwordx2 v[32:33], v[0:1], off offset:416
	v_add_u32_e32 v25, 0x400, v36
	ds_read2_b64 v[0:3], v36 offset1:63
	v_add_u32_e32 v34, 0x800, v36
	ds_read2_b64 v[4:7], v36 offset0:126 offset1:189
	v_add_u32_e32 v35, 0xc00, v36
	ds_read2_b64 v[8:11], v25 offset0:124 offset1:187
	ds_read2_b64 v[12:15], v34 offset0:122 offset1:185
	;; [unrolled: 1-line block ×3, first 2 shown]
	s_waitcnt lgkmcnt(0)
	; wave barrier
	s_waitcnt vmcnt(4) lgkmcnt(0)
	v_mul_f32_e32 v37, v21, v11
	v_mul_f32_e32 v21, v21, v10
	v_fma_f32 v10, v20, v10, -v37
	v_fmac_f32_e32 v21, v20, v11
	s_waitcnt vmcnt(3)
	v_mul_f32_e32 v38, v23, v13
	v_mul_f32_e32 v23, v23, v12
	s_waitcnt vmcnt(2)
	v_mul_f32_e32 v39, v29, v15
	v_mul_f32_e32 v29, v29, v14
	;; [unrolled: 3-line block ×3, first 2 shown]
	v_fma_f32 v12, v22, v12, -v38
	v_fmac_f32_e32 v23, v22, v13
	s_waitcnt vmcnt(0)
	v_mul_f32_e32 v11, v33, v19
	v_mul_f32_e32 v20, v33, v18
	v_fma_f32 v14, v28, v14, -v39
	v_fmac_f32_e32 v29, v28, v15
	v_fma_f32 v16, v30, v16, -v40
	v_fmac_f32_e32 v31, v30, v17
	;; [unrolled: 2-line block ×3, first 2 shown]
	v_sub_f32_e32 v10, v0, v10
	v_sub_f32_e32 v11, v1, v21
	;; [unrolled: 1-line block ×8, first 2 shown]
	v_fma_f32 v0, v0, 2.0, -v10
	v_fma_f32 v1, v1, 2.0, -v11
	;; [unrolled: 1-line block ×4, first 2 shown]
	v_sub_f32_e32 v18, v8, v18
	v_sub_f32_e32 v19, v9, v20
	v_fma_f32 v4, v4, 2.0, -v14
	v_fma_f32 v5, v5, 2.0, -v15
	;; [unrolled: 1-line block ×4, first 2 shown]
	ds_write2_b64 v34, v[12:13], v[14:15] offset0:122 offset1:185
	v_fma_f32 v8, v8, 2.0, -v18
	v_fma_f32 v9, v9, 2.0, -v19
	ds_write2_b64 v36, v[0:1], v[2:3] offset1:63
	ds_write2_b64 v36, v[4:5], v[6:7] offset0:126 offset1:189
	ds_write2_b64 v35, v[16:17], v[18:19] offset0:120 offset1:183
	;; [unrolled: 1-line block ×3, first 2 shown]
	s_waitcnt lgkmcnt(0)
	; wave barrier
	s_waitcnt lgkmcnt(0)
	s_and_saveexec_b64 s[2:3], s[0:1]
	s_cbranch_execz .LBB0_29
; %bb.28:
	v_lshl_add_u32 v6, v24, 3, 0
	v_mov_b32_e32 v25, 0
	ds_read2_b64 v[0:3], v6 offset1:63
	v_mov_b32_e32 v4, s13
	v_add_co_u32_e32 v7, vcc, s12, v26
	v_addc_co_u32_e32 v8, vcc, v4, v27, vcc
	v_lshlrev_b64 v[4:5], 3, v[24:25]
	v_add_co_u32_e32 v4, vcc, v7, v4
	v_addc_co_u32_e32 v5, vcc, v8, v5, vcc
	s_waitcnt lgkmcnt(0)
	global_store_dwordx2 v[4:5], v[0:1], off
	v_add_u32_e32 v0, 63, v24
	v_mov_b32_e32 v1, v25
	v_lshlrev_b64 v[0:1], 3, v[0:1]
	v_add_u32_e32 v4, 0x7e, v24
	v_add_co_u32_e32 v0, vcc, v7, v0
	v_addc_co_u32_e32 v1, vcc, v8, v1, vcc
	global_store_dwordx2 v[0:1], v[2:3], off
	v_mov_b32_e32 v5, v25
	ds_read2_b64 v[0:3], v6 offset0:126 offset1:189
	v_lshlrev_b64 v[4:5], 3, v[4:5]
	v_add_co_u32_e32 v4, vcc, v7, v4
	v_addc_co_u32_e32 v5, vcc, v8, v5, vcc
	s_waitcnt lgkmcnt(0)
	global_store_dwordx2 v[4:5], v[0:1], off
	v_add_u32_e32 v0, 0xbd, v24
	v_mov_b32_e32 v1, v25
	v_lshlrev_b64 v[0:1], 3, v[0:1]
	v_add_u32_e32 v4, 0xfc, v24
	v_add_co_u32_e32 v0, vcc, v7, v0
	v_addc_co_u32_e32 v1, vcc, v8, v1, vcc
	global_store_dwordx2 v[0:1], v[2:3], off
	v_add_u32_e32 v0, 0x400, v6
	v_mov_b32_e32 v5, v25
	ds_read2_b64 v[0:3], v0 offset0:124 offset1:187
	v_lshlrev_b64 v[4:5], 3, v[4:5]
	v_add_co_u32_e32 v4, vcc, v7, v4
	v_addc_co_u32_e32 v5, vcc, v8, v5, vcc
	s_waitcnt lgkmcnt(0)
	global_store_dwordx2 v[4:5], v[0:1], off
	v_add_u32_e32 v0, 0x13b, v24
	v_mov_b32_e32 v1, v25
	v_lshlrev_b64 v[0:1], 3, v[0:1]
	v_add_u32_e32 v4, 0x17a, v24
	v_add_co_u32_e32 v0, vcc, v7, v0
	v_addc_co_u32_e32 v1, vcc, v8, v1, vcc
	global_store_dwordx2 v[0:1], v[2:3], off
	v_add_u32_e32 v0, 0x800, v6
	;; [unrolled: 15-line block ×3, first 2 shown]
	v_mov_b32_e32 v5, v25
	ds_read2_b64 v[0:3], v0 offset0:120 offset1:183
	v_lshlrev_b64 v[4:5], 3, v[4:5]
	v_add_u32_e32 v24, 0x237, v24
	v_add_co_u32_e32 v4, vcc, v7, v4
	v_addc_co_u32_e32 v5, vcc, v8, v5, vcc
	s_waitcnt lgkmcnt(0)
	global_store_dwordx2 v[4:5], v[0:1], off
	v_lshlrev_b64 v[0:1], 3, v[24:25]
	v_add_co_u32_e32 v0, vcc, v7, v0
	v_addc_co_u32_e32 v1, vcc, v8, v1, vcc
	global_store_dwordx2 v[0:1], v[2:3], off
.LBB0_29:
	s_endpgm
	.section	.rodata,"a",@progbits
	.p2align	6, 0x0
	.amdhsa_kernel fft_rtc_fwd_len630_factors_3_3_5_7_2_wgs_63_tpt_63_halfLds_sp_ip_CI_unitstride_sbrr_C2R_dirReg
		.amdhsa_group_segment_fixed_size 0
		.amdhsa_private_segment_fixed_size 0
		.amdhsa_kernarg_size 88
		.amdhsa_user_sgpr_count 6
		.amdhsa_user_sgpr_private_segment_buffer 1
		.amdhsa_user_sgpr_dispatch_ptr 0
		.amdhsa_user_sgpr_queue_ptr 0
		.amdhsa_user_sgpr_kernarg_segment_ptr 1
		.amdhsa_user_sgpr_dispatch_id 0
		.amdhsa_user_sgpr_flat_scratch_init 0
		.amdhsa_user_sgpr_private_segment_size 0
		.amdhsa_uses_dynamic_stack 0
		.amdhsa_system_sgpr_private_segment_wavefront_offset 0
		.amdhsa_system_sgpr_workgroup_id_x 1
		.amdhsa_system_sgpr_workgroup_id_y 0
		.amdhsa_system_sgpr_workgroup_id_z 0
		.amdhsa_system_sgpr_workgroup_info 0
		.amdhsa_system_vgpr_workitem_id 0
		.amdhsa_next_free_vgpr 63
		.amdhsa_next_free_sgpr 22
		.amdhsa_reserve_vcc 1
		.amdhsa_reserve_flat_scratch 0
		.amdhsa_float_round_mode_32 0
		.amdhsa_float_round_mode_16_64 0
		.amdhsa_float_denorm_mode_32 3
		.amdhsa_float_denorm_mode_16_64 3
		.amdhsa_dx10_clamp 1
		.amdhsa_ieee_mode 1
		.amdhsa_fp16_overflow 0
		.amdhsa_exception_fp_ieee_invalid_op 0
		.amdhsa_exception_fp_denorm_src 0
		.amdhsa_exception_fp_ieee_div_zero 0
		.amdhsa_exception_fp_ieee_overflow 0
		.amdhsa_exception_fp_ieee_underflow 0
		.amdhsa_exception_fp_ieee_inexact 0
		.amdhsa_exception_int_div_zero 0
	.end_amdhsa_kernel
	.text
.Lfunc_end0:
	.size	fft_rtc_fwd_len630_factors_3_3_5_7_2_wgs_63_tpt_63_halfLds_sp_ip_CI_unitstride_sbrr_C2R_dirReg, .Lfunc_end0-fft_rtc_fwd_len630_factors_3_3_5_7_2_wgs_63_tpt_63_halfLds_sp_ip_CI_unitstride_sbrr_C2R_dirReg
                                        ; -- End function
	.section	.AMDGPU.csdata,"",@progbits
; Kernel info:
; codeLenInByte = 7316
; NumSgprs: 26
; NumVgprs: 63
; ScratchSize: 0
; MemoryBound: 0
; FloatMode: 240
; IeeeMode: 1
; LDSByteSize: 0 bytes/workgroup (compile time only)
; SGPRBlocks: 3
; VGPRBlocks: 15
; NumSGPRsForWavesPerEU: 26
; NumVGPRsForWavesPerEU: 63
; Occupancy: 4
; WaveLimiterHint : 1
; COMPUTE_PGM_RSRC2:SCRATCH_EN: 0
; COMPUTE_PGM_RSRC2:USER_SGPR: 6
; COMPUTE_PGM_RSRC2:TRAP_HANDLER: 0
; COMPUTE_PGM_RSRC2:TGID_X_EN: 1
; COMPUTE_PGM_RSRC2:TGID_Y_EN: 0
; COMPUTE_PGM_RSRC2:TGID_Z_EN: 0
; COMPUTE_PGM_RSRC2:TIDIG_COMP_CNT: 0
	.type	__hip_cuid_db6b6716c2759eac,@object ; @__hip_cuid_db6b6716c2759eac
	.section	.bss,"aw",@nobits
	.globl	__hip_cuid_db6b6716c2759eac
__hip_cuid_db6b6716c2759eac:
	.byte	0                               ; 0x0
	.size	__hip_cuid_db6b6716c2759eac, 1

	.ident	"AMD clang version 19.0.0git (https://github.com/RadeonOpenCompute/llvm-project roc-6.4.0 25133 c7fe45cf4b819c5991fe208aaa96edf142730f1d)"
	.section	".note.GNU-stack","",@progbits
	.addrsig
	.addrsig_sym __hip_cuid_db6b6716c2759eac
	.amdgpu_metadata
---
amdhsa.kernels:
  - .args:
      - .actual_access:  read_only
        .address_space:  global
        .offset:         0
        .size:           8
        .value_kind:     global_buffer
      - .offset:         8
        .size:           8
        .value_kind:     by_value
      - .actual_access:  read_only
        .address_space:  global
        .offset:         16
        .size:           8
        .value_kind:     global_buffer
      - .actual_access:  read_only
        .address_space:  global
        .offset:         24
        .size:           8
        .value_kind:     global_buffer
      - .offset:         32
        .size:           8
        .value_kind:     by_value
      - .actual_access:  read_only
        .address_space:  global
        .offset:         40
        .size:           8
        .value_kind:     global_buffer
      - .actual_access:  read_only
        .address_space:  global
        .offset:         48
        .size:           8
        .value_kind:     global_buffer
      - .offset:         56
        .size:           4
        .value_kind:     by_value
      - .actual_access:  read_only
        .address_space:  global
        .offset:         64
        .size:           8
        .value_kind:     global_buffer
      - .actual_access:  read_only
        .address_space:  global
        .offset:         72
        .size:           8
        .value_kind:     global_buffer
      - .address_space:  global
        .offset:         80
        .size:           8
        .value_kind:     global_buffer
    .group_segment_fixed_size: 0
    .kernarg_segment_align: 8
    .kernarg_segment_size: 88
    .language:       OpenCL C
    .language_version:
      - 2
      - 0
    .max_flat_workgroup_size: 63
    .name:           fft_rtc_fwd_len630_factors_3_3_5_7_2_wgs_63_tpt_63_halfLds_sp_ip_CI_unitstride_sbrr_C2R_dirReg
    .private_segment_fixed_size: 0
    .sgpr_count:     26
    .sgpr_spill_count: 0
    .symbol:         fft_rtc_fwd_len630_factors_3_3_5_7_2_wgs_63_tpt_63_halfLds_sp_ip_CI_unitstride_sbrr_C2R_dirReg.kd
    .uniform_work_group_size: 1
    .uses_dynamic_stack: false
    .vgpr_count:     63
    .vgpr_spill_count: 0
    .wavefront_size: 64
amdhsa.target:   amdgcn-amd-amdhsa--gfx906
amdhsa.version:
  - 1
  - 2
...

	.end_amdgpu_metadata
